;; amdgpu-corpus repo=LLNL/RAJAPerf kind=compiled arch=gfx906 opt=O3
	.amdgcn_target "amdgcn-amd-amdhsa--gfx906"
	.amdhsa_code_object_version 6
	.section	.text._ZN8rajaperf5basic16indexlist_customILm256ELm15EEEvPdPiPlS4_PjS4_l,"axG",@progbits,_ZN8rajaperf5basic16indexlist_customILm256ELm15EEEvPdPiPlS4_PjS4_l,comdat
	.protected	_ZN8rajaperf5basic16indexlist_customILm256ELm15EEEvPdPiPlS4_PjS4_l ; -- Begin function _ZN8rajaperf5basic16indexlist_customILm256ELm15EEEvPdPiPlS4_PjS4_l
	.globl	_ZN8rajaperf5basic16indexlist_customILm256ELm15EEEvPdPiPlS4_PjS4_l
	.p2align	8
	.type	_ZN8rajaperf5basic16indexlist_customILm256ELm15EEEvPdPiPlS4_PjS4_l,@function
_ZN8rajaperf5basic16indexlist_customILm256ELm15EEEvPdPiPlS4_PjS4_l: ; @_ZN8rajaperf5basic16indexlist_customILm256ELm15EEEvPdPiPlS4_PjS4_l
; %bb.0:
	s_load_dwordx8 s[40:47], s[4:5], 0x0
	s_load_dwordx4 s[48:51], s[4:5], 0x30
	s_mul_hi_i32 s0, s6, 0xf00
	s_mul_i32 s1, s6, 0xf00
	v_or_b32_e32 v57, s1, v0
	v_mov_b32_e32 v58, s0
	s_waitcnt lgkmcnt(0)
	v_cmp_gt_i64_e64 s[0:1], s[48:49], v[57:58]
	v_mov_b32_e32 v1, 0
	v_mov_b32_e32 v3, 0
	;; [unrolled: 1-line block ×4, first 2 shown]
	s_and_saveexec_b64 s[2:3], s[0:1]
	s_cbranch_execz .LBB0_4
; %bb.1:
	v_lshlrev_b64 v[3:4], 3, v[57:58]
	v_mov_b32_e32 v5, s41
	v_add_co_u32_e32 v3, vcc, s40, v3
	v_addc_co_u32_e32 v4, vcc, v5, v4, vcc
	global_load_dwordx2 v[3:4], v[3:4], off
	s_waitcnt vmcnt(0)
	v_cmp_gt_f64_e32 vcc, 0, v[3:4]
	v_mov_b32_e32 v3, 0
	v_mov_b32_e32 v4, 0
	s_and_saveexec_b64 s[8:9], vcc
; %bb.2:
	v_mov_b32_e32 v3, 1
	v_mov_b32_e32 v4, 0
; %bb.3:
	s_or_b64 exec, exec, s[8:9]
.LBB0_4:
	s_or_b64 exec, exec, s[2:3]
	v_add_co_u32_e32 v59, vcc, 0x100, v57
	v_addc_co_u32_e32 v60, vcc, 0, v58, vcc
	v_cmp_gt_i64_e64 s[2:3], s[48:49], v[59:60]
	s_and_saveexec_b64 s[8:9], s[2:3]
	s_cbranch_execz .LBB0_8
; %bb.5:
	v_lshlrev_b64 v[1:2], 3, v[57:58]
	v_mov_b32_e32 v5, s41
	v_add_co_u32_e32 v1, vcc, s40, v1
	v_addc_co_u32_e32 v2, vcc, v5, v2, vcc
	global_load_dwordx2 v[1:2], v[1:2], off offset:2048
	s_waitcnt vmcnt(0)
	v_cmp_gt_f64_e32 vcc, 0, v[1:2]
	v_mov_b32_e32 v1, 0
	v_mov_b32_e32 v2, 0
	s_and_saveexec_b64 s[10:11], vcc
; %bb.6:
	v_mov_b32_e32 v1, 1
	v_mov_b32_e32 v2, 0
; %bb.7:
	s_or_b64 exec, exec, s[10:11]
.LBB0_8:
	s_or_b64 exec, exec, s[8:9]
	v_add_co_u32_e32 v61, vcc, 0x200, v57
	v_addc_co_u32_e32 v62, vcc, 0, v58, vcc
	v_cmp_gt_i64_e64 s[34:35], s[48:49], v[61:62]
	v_mov_b32_e32 v5, 0
	v_mov_b32_e32 v7, 0
	v_mov_b32_e32 v6, 0
	v_mov_b32_e32 v8, 0
	s_and_saveexec_b64 s[8:9], s[34:35]
	s_cbranch_execz .LBB0_12
; %bb.9:
	v_lshlrev_b64 v[7:8], 3, v[61:62]
	v_mov_b32_e32 v9, s41
	v_add_co_u32_e32 v7, vcc, s40, v7
	v_addc_co_u32_e32 v8, vcc, v9, v8, vcc
	global_load_dwordx2 v[7:8], v[7:8], off
	s_waitcnt vmcnt(0)
	v_cmp_gt_f64_e32 vcc, 0, v[7:8]
	v_mov_b32_e32 v7, 0
	v_mov_b32_e32 v8, 0
	s_and_saveexec_b64 s[10:11], vcc
; %bb.10:
	v_mov_b32_e32 v7, 1
	v_mov_b32_e32 v8, 0
; %bb.11:
	s_or_b64 exec, exec, s[10:11]
.LBB0_12:
	s_or_b64 exec, exec, s[8:9]
	v_add_co_u32_e32 v63, vcc, 0x300, v57
	v_addc_co_u32_e32 v64, vcc, 0, v58, vcc
	v_cmp_gt_i64_e64 s[30:31], s[48:49], v[63:64]
	s_and_saveexec_b64 s[8:9], s[30:31]
	s_cbranch_execz .LBB0_16
; %bb.13:
	v_lshlrev_b64 v[5:6], 3, v[63:64]
	v_mov_b32_e32 v9, s41
	v_add_co_u32_e32 v5, vcc, s40, v5
	v_addc_co_u32_e32 v6, vcc, v9, v6, vcc
	global_load_dwordx2 v[5:6], v[5:6], off
	s_waitcnt vmcnt(0)
	v_cmp_gt_f64_e32 vcc, 0, v[5:6]
	v_mov_b32_e32 v5, 0
	v_mov_b32_e32 v6, 0
	s_and_saveexec_b64 s[10:11], vcc
; %bb.14:
	v_mov_b32_e32 v5, 1
	v_mov_b32_e32 v6, 0
; %bb.15:
	s_or_b64 exec, exec, s[10:11]
.LBB0_16:
	s_or_b64 exec, exec, s[8:9]
	v_add_co_u32_e32 v65, vcc, 0x400, v57
	v_addc_co_u32_e32 v66, vcc, 0, v58, vcc
	v_cmp_gt_i64_e64 s[8:9], s[48:49], v[65:66]
	v_mov_b32_e32 v9, 0
	v_mov_b32_e32 v11, 0
	v_mov_b32_e32 v10, 0
	v_mov_b32_e32 v12, 0
	s_and_saveexec_b64 s[10:11], s[8:9]
	s_cbranch_execz .LBB0_20
; %bb.17:
	v_lshlrev_b64 v[11:12], 3, v[65:66]
	v_mov_b32_e32 v13, s41
	v_add_co_u32_e32 v11, vcc, s40, v11
	v_addc_co_u32_e32 v12, vcc, v13, v12, vcc
	global_load_dwordx2 v[11:12], v[11:12], off
	s_waitcnt vmcnt(0)
	v_cmp_gt_f64_e32 vcc, 0, v[11:12]
	v_mov_b32_e32 v11, 0
	v_mov_b32_e32 v12, 0
	s_and_saveexec_b64 s[12:13], vcc
; %bb.18:
	v_mov_b32_e32 v11, 1
	v_mov_b32_e32 v12, 0
; %bb.19:
	s_or_b64 exec, exec, s[12:13]
.LBB0_20:
	s_or_b64 exec, exec, s[10:11]
	v_add_co_u32_e32 v67, vcc, 0x500, v57
	v_addc_co_u32_e32 v68, vcc, 0, v58, vcc
	v_cmp_gt_i64_e64 s[10:11], s[48:49], v[67:68]
	s_and_saveexec_b64 s[12:13], s[10:11]
	s_cbranch_execz .LBB0_24
; %bb.21:
	v_lshlrev_b64 v[9:10], 3, v[67:68]
	v_mov_b32_e32 v13, s41
	v_add_co_u32_e32 v9, vcc, s40, v9
	v_addc_co_u32_e32 v10, vcc, v13, v10, vcc
	global_load_dwordx2 v[9:10], v[9:10], off
	s_waitcnt vmcnt(0)
	v_cmp_gt_f64_e32 vcc, 0, v[9:10]
	v_mov_b32_e32 v9, 0
	v_mov_b32_e32 v10, 0
	s_and_saveexec_b64 s[14:15], vcc
; %bb.22:
	v_mov_b32_e32 v9, 1
	v_mov_b32_e32 v10, 0
; %bb.23:
	s_or_b64 exec, exec, s[14:15]
.LBB0_24:
	;; [unrolled: 50-line block ×6, first 2 shown]
	s_or_b64 exec, exec, s[28:29]
	v_add_co_u32_e32 v85, vcc, 0xe00, v57
	v_addc_co_u32_e32 v86, vcc, 0, v58, vcc
	v_cmp_gt_i64_e64 s[28:29], s[48:49], v[85:86]
	v_mov_b32_e32 v29, 0
	v_mov_b32_e32 v30, 0
	s_and_saveexec_b64 s[36:37], s[28:29]
	s_cbranch_execz .LBB0_60
; %bb.57:
	v_lshlrev_b64 v[29:30], 3, v[85:86]
	v_mov_b32_e32 v31, s41
	v_add_co_u32_e32 v29, vcc, s40, v29
	v_addc_co_u32_e32 v30, vcc, v31, v30, vcc
	global_load_dwordx2 v[29:30], v[29:30], off
	s_waitcnt vmcnt(0)
	v_cmp_gt_f64_e32 vcc, 0, v[29:30]
	v_mov_b32_e32 v29, 0
	v_mov_b32_e32 v30, 0
	s_and_saveexec_b64 s[38:39], vcc
; %bb.58:
	v_mov_b32_e32 v29, 1
	v_mov_b32_e32 v30, 0
; %bb.59:
	s_or_b64 exec, exec, s[38:39]
.LBB0_60:
	s_or_b64 exec, exec, s[36:37]
	v_lshlrev_b32_e32 v87, 3, v0
	s_movk_i32 s7, 0x70
	s_load_dword s33, s[4:5], 0x38
	ds_write2st64_b64 v87, v[3:4], v[1:2] offset1:4
	ds_write2st64_b64 v87, v[7:8], v[5:6] offset0:8 offset1:12
	ds_write2st64_b64 v87, v[11:12], v[9:10] offset0:16 offset1:20
	ds_write2st64_b64 v87, v[15:16], v[13:14] offset0:24 offset1:28
	ds_write2st64_b64 v87, v[19:20], v[17:18] offset0:32 offset1:36
	ds_write2st64_b64 v87, v[23:24], v[21:22] offset0:40 offset1:44
	ds_write2st64_b64 v87, v[27:28], v[25:26] offset0:48 offset1:52
	ds_write_b64 v87, v[29:30] offset:28672
	v_mad_u32_u24 v29, v0, s7, v87
	s_waitcnt lgkmcnt(0)
	s_barrier
	ds_read2_b64 v[1:4], v29 offset1:1
	ds_read2_b64 v[5:8], v29 offset0:2 offset1:3
	ds_read2_b64 v[9:12], v29 offset0:4 offset1:5
	;; [unrolled: 1-line block ×6, first 2 shown]
	ds_read_b64 v[29:30], v29 offset:112
	s_waitcnt lgkmcnt(7)
	v_add_co_u32_e32 v31, vcc, v3, v1
	v_addc_co_u32_e32 v32, vcc, v4, v2, vcc
	s_waitcnt lgkmcnt(6)
	v_add_co_u32_e32 v31, vcc, v31, v5
	v_addc_co_u32_e32 v32, vcc, v32, v6, vcc
	v_add_co_u32_e32 v31, vcc, v31, v7
	v_addc_co_u32_e32 v32, vcc, v32, v8, vcc
	s_waitcnt lgkmcnt(5)
	v_add_co_u32_e32 v31, vcc, v31, v9
	v_addc_co_u32_e32 v32, vcc, v32, v10, vcc
	;; [unrolled: 5-line block ×6, first 2 shown]
	v_add_co_u32_e32 v31, vcc, v31, v27
	v_addc_co_u32_e32 v32, vcc, v32, v28, vcc
	v_mbcnt_lo_u32_b32 v33, -1, 0
	s_waitcnt lgkmcnt(0)
	v_add_co_u32_e32 v31, vcc, v31, v29
	v_mbcnt_hi_u32_b32 v97, -1, v33
	v_addc_co_u32_e32 v32, vcc, v32, v30, vcc
	v_and_b32_e32 v34, 15, v97
	v_mov_b32_dpp v36, v31 row_shr:1 row_mask:0xf bank_mask:0xf
	v_mov_b32_dpp v35, v32 row_shr:1 row_mask:0xf bank_mask:0xf
	v_cmp_ne_u32_e32 vcc, 0, v34
	v_mov_b32_e32 v33, v31
	s_barrier
	s_and_saveexec_b64 s[36:37], vcc
	s_xor_b64 s[36:37], exec, s[36:37]
; %bb.61:
	v_add_co_u32_e32 v33, vcc, v31, v36
	v_addc_co_u32_e32 v32, vcc, 0, v32, vcc
	v_add_co_u32_e32 v31, vcc, 0, v33
	v_addc_co_u32_e32 v32, vcc, v35, v32, vcc
; %bb.62:
	s_or_b64 exec, exec, s[36:37]
	v_mov_b32_dpp v36, v33 row_shr:2 row_mask:0xf bank_mask:0xf
	v_mov_b32_dpp v35, v32 row_shr:2 row_mask:0xf bank_mask:0xf
	v_cmp_lt_u32_e32 vcc, 1, v34
	s_and_saveexec_b64 s[36:37], vcc
; %bb.63:
	v_add_co_u32_e32 v33, vcc, v31, v36
	v_addc_co_u32_e32 v32, vcc, 0, v32, vcc
	v_add_co_u32_e32 v31, vcc, 0, v33
	v_addc_co_u32_e32 v32, vcc, v35, v32, vcc
; %bb.64:
	s_or_b64 exec, exec, s[36:37]
	v_mov_b32_dpp v36, v33 row_shr:4 row_mask:0xf bank_mask:0xf
	v_mov_b32_dpp v35, v32 row_shr:4 row_mask:0xf bank_mask:0xf
	v_cmp_lt_u32_e32 vcc, 3, v34
	s_and_saveexec_b64 s[36:37], vcc
	;; [unrolled: 11-line block ×3, first 2 shown]
; %bb.67:
	v_add_co_u32_e32 v33, vcc, v31, v36
	v_addc_co_u32_e32 v32, vcc, 0, v32, vcc
	v_add_co_u32_e32 v31, vcc, 0, v33
	v_addc_co_u32_e32 v32, vcc, v35, v32, vcc
; %bb.68:
	s_or_b64 exec, exec, s[36:37]
	v_and_b32_e32 v36, 16, v97
	v_mov_b32_dpp v35, v33 row_bcast:15 row_mask:0xf bank_mask:0xf
	v_mov_b32_dpp v34, v32 row_bcast:15 row_mask:0xf bank_mask:0xf
	v_cmp_ne_u32_e32 vcc, 0, v36
	s_and_saveexec_b64 s[36:37], vcc
; %bb.69:
	v_add_co_u32_e32 v33, vcc, v31, v35
	v_addc_co_u32_e32 v32, vcc, 0, v32, vcc
	v_add_co_u32_e32 v31, vcc, 0, v33
	v_addc_co_u32_e32 v32, vcc, v34, v32, vcc
; %bb.70:
	s_or_b64 exec, exec, s[36:37]
	v_mov_b32_dpp v33, v33 row_bcast:31 row_mask:0xf bank_mask:0xf
	v_add_co_u32_e32 v33, vcc, v31, v33
	v_addc_co_u32_e32 v35, vcc, 0, v32, vcc
	s_load_dwordx4 s[52:55], s[4:5], 0x20
	v_mov_b32_dpp v34, v32 row_bcast:31 row_mask:0xf bank_mask:0xf
	v_add_co_u32_e32 v33, vcc, 0, v33
	v_addc_co_u32_e32 v34, vcc, v35, v34, vcc
	v_cmp_lt_u32_e32 vcc, 31, v97
	v_cndmask_b32_e32 v31, v31, v33, vcc
	v_or_b32_e32 v33, 63, v0
	s_ashr_i32 s7, s6, 31
	v_cndmask_b32_e32 v32, v32, v34, vcc
	v_lshrrev_b32_e32 v35, 6, v0
	v_cmp_eq_u32_e32 vcc, v0, v33
	s_and_saveexec_b64 s[4:5], vcc
; %bb.71:
	v_lshlrev_b32_e32 v33, 3, v35
	ds_write_b64 v33, v[31:32]
; %bb.72:
	s_or_b64 exec, exec, s[4:5]
	v_cmp_gt_u32_e32 vcc, 4, v0
	s_waitcnt lgkmcnt(0)
	s_barrier
	s_and_saveexec_b64 s[4:5], vcc
	s_cbranch_execz .LBB0_76
; %bb.73:
	ds_read_b64 v[33:34], v87
	v_and_b32_e32 v36, 3, v97
	v_cmp_ne_u32_e32 vcc, 0, v36
	s_waitcnt lgkmcnt(0)
	v_mov_b32_dpp v39, v33 row_shr:1 row_mask:0xf bank_mask:0xf
	v_mov_b32_dpp v38, v34 row_shr:1 row_mask:0xf bank_mask:0xf
	v_mov_b32_e32 v37, v33
	s_and_saveexec_b64 s[36:37], vcc
; %bb.74:
	v_add_co_u32_e32 v37, vcc, v33, v39
	v_addc_co_u32_e32 v34, vcc, 0, v34, vcc
	v_add_co_u32_e32 v33, vcc, 0, v37
	v_addc_co_u32_e32 v34, vcc, v38, v34, vcc
; %bb.75:
	s_or_b64 exec, exec, s[36:37]
	v_mov_b32_dpp v37, v37 row_shr:2 row_mask:0xf bank_mask:0xf
	v_cmp_lt_u32_e32 vcc, 1, v36
	v_mov_b32_dpp v38, v34 row_shr:2 row_mask:0xf bank_mask:0xf
	v_cndmask_b32_e32 v37, 0, v37, vcc
	v_cndmask_b32_e32 v36, 0, v38, vcc
	v_add_co_u32_e32 v33, vcc, v37, v33
	v_addc_co_u32_e32 v34, vcc, v36, v34, vcc
	ds_write_b64 v87, v[33:34]
.LBB0_76:
	s_or_b64 exec, exec, s[4:5]
	v_mov_b32_e32 v33, 0
	v_mul_u32_u24_e32 v36, 0x70, v0
	v_mov_b32_e32 v34, 0
	v_cmp_lt_u32_e32 vcc, 63, v0
	s_waitcnt lgkmcnt(0)
	s_barrier
	s_and_saveexec_b64 s[4:5], vcc
; %bb.77:
	v_lshl_add_u32 v33, v35, 3, -8
	ds_read_b64 v[33:34], v33
; %bb.78:
	s_or_b64 exec, exec, s[4:5]
	s_waitcnt lgkmcnt(0)
	v_add_co_u32_e32 v31, vcc, v33, v31
	v_addc_co_u32_e32 v32, vcc, v34, v32, vcc
	v_subrev_co_u32_e32 v35, vcc, 1, v97
	v_and_b32_e32 v37, 64, v97
	v_cmp_lt_i32_e64 s[4:5], v35, v37
	v_cndmask_b32_e64 v35, v35, v97, s[4:5]
	v_lshlrev_b32_e32 v35, 2, v35
	ds_bpermute_b32 v31, v35, v31
	ds_bpermute_b32 v32, v35, v32
	v_add_u32_e32 v35, v87, v36
	s_waitcnt lgkmcnt(0)
	s_barrier
	v_cndmask_b32_e32 v31, v31, v33, vcc
	v_cndmask_b32_e32 v32, v32, v34, vcc
	v_cmp_ne_u32_e32 vcc, 0, v0
	v_cndmask_b32_e32 v31, 0, v31, vcc
	v_cndmask_b32_e32 v32, 0, v32, vcc
	v_add_co_u32_e32 v33, vcc, v31, v1
	v_addc_co_u32_e32 v34, vcc, v32, v2, vcc
	v_add_co_u32_e32 v37, vcc, v33, v3
	v_addc_co_u32_e32 v38, vcc, v34, v4, vcc
	;; [unrolled: 2-line block ×15, first 2 shown]
	ds_write2_b64 v35, v[31:32], v[33:34] offset1:1
	ds_write2_b64 v35, v[37:38], v[39:40] offset0:2 offset1:3
	ds_write2_b64 v35, v[41:42], v[43:44] offset0:4 offset1:5
	ds_write2_b64 v35, v[45:46], v[47:48] offset0:6 offset1:7
	ds_write2_b64 v35, v[49:50], v[51:52] offset0:8 offset1:9
	ds_write2_b64 v35, v[53:54], v[55:56] offset0:10 offset1:11
	ds_write2_b64 v35, v[88:89], v[93:94] offset0:12 offset1:13
	ds_write_b64 v35, v[95:96] offset:112
	s_waitcnt lgkmcnt(0)
	s_barrier
	ds_read2st64_b64 v[1:4], v87 offset1:4
	ds_read2st64_b64 v[5:8], v87 offset0:8 offset1:12
	ds_read2st64_b64 v[9:12], v87 offset0:16 offset1:20
	;; [unrolled: 1-line block ×6, first 2 shown]
	ds_read_b64 v[91:92], v87 offset:28672
	s_waitcnt lgkmcnt(0)
	s_barrier
	ds_write2_b64 v35, v[33:34], v[37:38] offset1:1
	ds_write2_b64 v35, v[39:40], v[41:42] offset0:2 offset1:3
	ds_write2_b64 v35, v[43:44], v[45:46] offset0:4 offset1:5
	;; [unrolled: 1-line block ×6, first 2 shown]
	ds_write_b64 v35, v[29:30] offset:112
	s_waitcnt lgkmcnt(0)
	s_barrier
	ds_read2st64_b64 v[29:32], v87 offset1:4
	ds_read2st64_b64 v[33:36], v87 offset0:8 offset1:12
	ds_read2st64_b64 v[37:40], v87 offset0:16 offset1:20
	;; [unrolled: 1-line block ×6, first 2 shown]
	ds_read_b64 v[105:106], v87 offset:28672
	s_add_i32 s33, s33, -1
	s_cmp_lg_u32 s6, s33
	s_movk_i32 s4, 0xff
	s_cselect_b64 s[50:51], -1, 0
	v_cmp_eq_u32_e64 s[4:5], s4, v0
	s_and_b64 s[40:41], s[4:5], s[50:51]
	s_cmp_lg_u32 s6, 0
	s_waitcnt lgkmcnt(0)
	s_barrier
	s_cbranch_scc0 .LBB0_89
; %bb.79:
	s_and_saveexec_b64 s[36:37], s[40:41]
	s_cbranch_execz .LBB0_81
; %bb.80:
	s_lshl_b64 s[38:39], s[6:7], 3
	s_add_u32 s38, s44, s38
	s_addc_u32 s39, s45, s39
	s_lshl_b64 s[56:57], s[6:7], 2
	s_add_u32 s56, s52, s56
	v_mov_b32_e32 v87, 0
	s_addc_u32 s57, s53, s57
	v_mov_b32_e32 v88, 1
	global_store_dwordx2 v87, v[105:106], s[38:39]
	s_waitcnt vmcnt(0)
	buffer_wbinvl1_vol
	global_atomic_swap v87, v88, s[56:57]
.LBB0_81:
	s_or_b64 exec, exec, s[36:37]
	s_movk_i32 s33, 0xbf
	v_cmp_lt_u32_e32 vcc, s33, v0
	s_and_saveexec_b64 s[56:57], vcc
	s_cbranch_execz .LBB0_104
; %bb.82:
	s_sub_i32 s33, s6, 64
	v_and_b32_e32 v0, 63, v0
	s_cmp_lt_i32 s33, 0
	v_mov_b32_e32 v90, 0
	s_cbranch_scc1 .LBB0_91
; %bb.83:
	v_mov_b32_e32 v87, 0
	v_mov_b32_e32 v93, 11
	;; [unrolled: 1-line block ×5, first 2 shown]
	s_branch .LBB0_85
.LBB0_84:                               ;   in Loop: Header=BB0_85 Depth=1
	s_cmp_lt_i32 s33, 0
	s_cselect_b64 s[58:59], -1, 0
	s_or_b64 s[58:59], s[38:39], s[58:59]
	s_andn2_b64 vcc, exec, s[58:59]
	s_cbranch_vccz .LBB0_90
.LBB0_85:                               ; =>This Loop Header: Depth=1
                                        ;     Child Loop BB0_86 Depth 2
	v_add_u32_e32 v89, s33, v0
	v_lshlrev_b64 v[95:96], 2, v[89:90]
	v_add_co_u32_e32 v95, vcc, s52, v95
	v_addc_co_u32_e32 v96, vcc, v98, v96, vcc
.LBB0_86:                               ;   Parent Loop BB0_85 Depth=1
                                        ; =>  This Inner Loop Header: Depth=2
	global_atomic_cmpswap v99, v[95:96], v[93:94], off glc
	s_waitcnt vmcnt(0)
	v_cmp_ne_u32_e32 vcc, 0, v99
	s_cmp_lg_u64 vcc, -1
	s_cbranch_scc1 .LBB0_86
; %bb.87:                               ;   in Loop: Header=BB0_85 Depth=1
	v_cmp_eq_u32_e64 s[36:37], 2, v99
	s_cmp_lg_u64 s[36:37], 0
	s_cselect_b64 s[38:39], -1, 0
	s_mov_b64 vcc, s[36:37]
	s_cbranch_vccnz .LBB0_84
; %bb.88:                               ;   in Loop: Header=BB0_85 Depth=1
	v_lshlrev_b64 v[95:96], 3, v[89:90]
	v_mov_b32_e32 v89, s45
	v_add_co_u32_e32 v95, vcc, s44, v95
	v_addc_co_u32_e32 v96, vcc, v89, v96, vcc
	buffer_wbinvl1_vol
	global_load_dwordx2 v[95:96], v[95:96], off
	s_sub_i32 s33, s33, 64
	v_mov_b32_e32 v99, 0
	s_waitcnt vmcnt(0)
	v_add_co_u32_e32 v87, vcc, v95, v87
	v_addc_co_u32_e32 v88, vcc, v96, v88, vcc
	s_branch .LBB0_84
.LBB0_89:
                                        ; implicit-def: $vgpr89_vgpr90
                                        ; implicit-def: $vgpr95_vgpr96
                                        ; implicit-def: $vgpr99_vgpr100
                                        ; implicit-def: $vgpr103_vgpr104
                                        ; implicit-def: $vgpr109_vgpr110
                                        ; implicit-def: $vgpr113_vgpr114
                                        ; implicit-def: $vgpr117_vgpr118
                                        ; implicit-def: $vgpr121_vgpr122
                                        ; implicit-def: $vgpr125_vgpr126
                                        ; implicit-def: $vgpr129_vgpr130
                                        ; implicit-def: $vgpr133_vgpr134
                                        ; implicit-def: $vgpr137_vgpr138
                                        ; implicit-def: $vgpr141_vgpr142
                                        ; implicit-def: $vgpr145_vgpr146
                                        ; implicit-def: $vgpr149_vgpr150
                                        ; implicit-def: $vgpr87_vgpr88
                                        ; implicit-def: $vgpr93_vgpr94
                                        ; implicit-def: $vgpr97_vgpr98
                                        ; implicit-def: $vgpr101_vgpr102
                                        ; implicit-def: $vgpr107_vgpr108
                                        ; implicit-def: $vgpr111_vgpr112
                                        ; implicit-def: $vgpr115_vgpr116
                                        ; implicit-def: $vgpr119_vgpr120
                                        ; implicit-def: $vgpr123_vgpr124
                                        ; implicit-def: $vgpr127_vgpr128
                                        ; implicit-def: $vgpr131_vgpr132
                                        ; implicit-def: $vgpr135_vgpr136
                                        ; implicit-def: $vgpr139_vgpr140
                                        ; implicit-def: $vgpr143_vgpr144
                                        ; implicit-def: $vgpr147_vgpr148
	s_cbranch_execnz .LBB0_105
	s_branch .LBB0_108
.LBB0_90:
	v_mov_b32_e32 v90, v99
	v_add_u32_e32 v93, s33, v0
	s_and_b64 vcc, exec, s[38:39]
	s_cbranch_vccz .LBB0_92
	s_branch .LBB0_96
.LBB0_91:
	v_mov_b32_e32 v87, 0
	v_mov_b32_e32 v88, 0
	s_mov_b64 s[36:37], 0
	v_add_u32_e32 v93, s33, v0
.LBB0_92:
	v_mov_b32_e32 v94, 0
	v_lshlrev_b64 v[94:95], 2, v[93:94]
	v_mov_b32_e32 v89, s53
	v_add_co_u32_e32 v94, vcc, s52, v94
	v_cmp_lt_i32_e64 s[38:39], -1, v93
	v_addc_co_u32_e32 v95, vcc, v89, v95, vcc
	v_mov_b32_e32 v89, 11
	s_branch .LBB0_94
.LBB0_93:                               ;   in Loop: Header=BB0_94 Depth=1
	s_or_b64 exec, exec, s[36:37]
	s_waitcnt vmcnt(0)
	v_cmp_ne_u32_e32 vcc, 0, v90
	s_not_b64 s[58:59], vcc
	v_mov_b32_e32 v99, s59
	v_cmp_eq_u32_e64 s[36:37], 2, v90
	v_mov_b32_e32 v98, s58
	v_cmp_le_u64_e32 vcc, s[36:37], v[98:99]
	s_cbranch_vccz .LBB0_96
.LBB0_94:                               ; =>This Inner Loop Header: Depth=1
	s_and_saveexec_b64 s[36:37], s[38:39]
	s_cbranch_execz .LBB0_93
; %bb.95:                               ;   in Loop: Header=BB0_94 Depth=1
	v_mov_b32_e32 v90, v89
	global_atomic_cmpswap v90, v[94:95], v[89:90], off glc
	s_branch .LBB0_93
.LBB0_96:
	v_lshrrev_b64 v[89:90], v0, s[36:37]
	s_waitcnt vmcnt(0)
	buffer_wbinvl1_vol
	v_cmp_eq_u64_e64 s[38:39], 0, v[89:90]
	v_cmp_ne_u64_e32 vcc, 0, v[89:90]
	v_mov_b32_e32 v90, s45
	v_mov_b32_e32 v89, s44
	s_and_saveexec_b64 s[58:59], vcc
	s_cbranch_execz .LBB0_98
; %bb.97:
	v_xor_b32_e32 v0, 63, v0
	v_lshrrev_b64 v[89:90], v0, -1
	v_cmp_le_u64_e32 vcc, s[36:37], v[89:90]
	v_mov_b32_e32 v90, s47
	s_andn2_b64 s[36:37], s[38:39], exec
	s_and_b64 s[38:39], vcc, exec
	v_mov_b32_e32 v89, s46
	s_or_b64 s[38:39], s[36:37], s[38:39]
.LBB0_98:
	s_or_b64 exec, exec, s[58:59]
	s_and_saveexec_b64 s[36:37], s[38:39]
	s_cbranch_execz .LBB0_100
; %bb.99:
	v_ashrrev_i32_e32 v94, 31, v93
	v_lshlrev_b64 v[93:94], 3, v[93:94]
	v_add_co_u32_e32 v89, vcc, v89, v93
	v_addc_co_u32_e32 v90, vcc, v90, v94, vcc
	global_load_dwordx2 v[89:90], v[89:90], off
	s_waitcnt vmcnt(0)
	v_add_co_u32_e32 v87, vcc, v89, v87
	v_addc_co_u32_e32 v88, vcc, v90, v88, vcc
.LBB0_100:
	s_or_b64 exec, exec, s[36:37]
	v_mov_b32_dpp v0, v87 quad_perm:[1,0,3,2] row_mask:0xf bank_mask:0xf
	v_add_co_u32_e32 v0, vcc, v87, v0
	v_addc_co_u32_e32 v87, vcc, 0, v88, vcc
	v_mov_b32_dpp v89, v88 quad_perm:[1,0,3,2] row_mask:0xf bank_mask:0xf
	v_add_co_u32_e32 v88, vcc, 0, v0
	v_addc_co_u32_e32 v87, vcc, v89, v87, vcc
	v_mov_b32_dpp v0, v0 quad_perm:[2,3,0,1] row_mask:0xf bank_mask:0xf
	v_add_co_u32_e32 v0, vcc, v88, v0
	v_mov_b32_dpp v89, v87 quad_perm:[2,3,0,1] row_mask:0xf bank_mask:0xf
	v_addc_co_u32_e32 v87, vcc, 0, v87, vcc
	v_add_co_u32_e32 v88, vcc, 0, v0
	v_addc_co_u32_e32 v87, vcc, v87, v89, vcc
	v_mov_b32_dpp v0, v0 row_ror:4 row_mask:0xf bank_mask:0xf
	v_add_co_u32_e32 v0, vcc, v88, v0
	v_mov_b32_dpp v89, v87 row_ror:4 row_mask:0xf bank_mask:0xf
	v_addc_co_u32_e32 v87, vcc, 0, v87, vcc
	v_add_co_u32_e32 v88, vcc, 0, v0
	v_addc_co_u32_e32 v87, vcc, v87, v89, vcc
	v_mov_b32_dpp v0, v0 row_ror:8 row_mask:0xf bank_mask:0xf
	v_add_co_u32_e32 v0, vcc, v88, v0
	v_mov_b32_dpp v89, v87 row_ror:8 row_mask:0xf bank_mask:0xf
	v_addc_co_u32_e32 v87, vcc, 0, v87, vcc
	v_add_co_u32_e32 v88, vcc, 0, v0
	v_addc_co_u32_e32 v87, vcc, v87, v89, vcc
	v_mov_b32_dpp v0, v0 row_bcast:15 row_mask:0xf bank_mask:0xf
	v_add_co_u32_e32 v0, vcc, v88, v0
	v_mov_b32_dpp v89, v87 row_bcast:15 row_mask:0xf bank_mask:0xf
	v_addc_co_u32_e32 v87, vcc, 0, v87, vcc
	v_add_co_u32_e32 v88, vcc, 0, v0
	v_addc_co_u32_e32 v87, vcc, v87, v89, vcc
	v_mov_b32_dpp v0, v0 row_bcast:31 row_mask:0xf bank_mask:0xf
	v_add_co_u32_e32 v0, vcc, v88, v0
	v_mov_b32_dpp v89, v87 row_bcast:31 row_mask:0xf bank_mask:0xf
	v_addc_co_u32_e32 v87, vcc, 0, v87, vcc
	v_lshlrev_b32_e32 v88, 2, v97
	v_add_u32_e32 v87, v89, v87
	v_or_b32_e32 v89, 0xfc, v88
	ds_bpermute_b32 v0, v89, v0
	ds_bpermute_b32 v89, v89, v87
	v_and_b32_e32 v88, 0x100, v88
	s_waitcnt lgkmcnt(1)
	ds_bpermute_b32 v87, v88, v0
	s_waitcnt lgkmcnt(1)
	ds_bpermute_b32 v88, v88, v89
	s_and_b64 exec, exec, s[4:5]
	s_cbranch_execz .LBB0_104
; %bb.101:
	s_andn2_b64 vcc, exec, s[50:51]
	s_cbranch_vccnz .LBB0_103
; %bb.102:
	s_lshl_b64 s[4:5], s[6:7], 2
	s_add_u32 s4, s52, s4
	s_addc_u32 s5, s53, s5
	s_lshl_b64 s[6:7], s[6:7], 3
	s_add_u32 s6, s46, s6
	s_waitcnt lgkmcnt(1)
	v_add_co_u32_e32 v89, vcc, v87, v105
	v_mov_b32_e32 v0, 0
	s_addc_u32 s7, s47, s7
	s_waitcnt lgkmcnt(0)
	v_addc_co_u32_e32 v90, vcc, v88, v106, vcc
	global_store_dwordx2 v0, v[89:90], s[6:7]
	v_mov_b32_e32 v89, 2
	s_waitcnt vmcnt(0)
	buffer_wbinvl1_vol
	global_atomic_swap v0, v89, s[4:5]
.LBB0_103:
	s_mov_b64 s[4:5], src_shared_base
	v_mov_b32_e32 v89, 0
	v_mov_b32_e32 v90, s5
	s_waitcnt lgkmcnt(0)
	flat_store_dwordx2 v[89:90], v[87:88]
	s_waitcnt vmcnt(0)
.LBB0_104:
	s_or_b64 exec, exec, s[56:57]
	s_mov_b64 s[4:5], src_shared_base
	s_waitcnt lgkmcnt(0)
	v_mov_b32_e32 v87, 0
	v_mov_b32_e32 v88, s5
	s_waitcnt vmcnt(0)
	s_barrier
	flat_load_dwordx2 v[87:88], v[87:88] glc
	s_waitcnt vmcnt(0)
	s_waitcnt lgkmcnt(0)
	v_add_co_u32_e32 v149, vcc, v87, v1
	v_addc_co_u32_e32 v150, vcc, v88, v2, vcc
	v_add_co_u32_e32 v147, vcc, v87, v29
	v_addc_co_u32_e32 v148, vcc, v88, v30, vcc
	;; [unrolled: 2-line block ×30, first 2 shown]
	s_branch .LBB0_108
.LBB0_105:
	s_and_saveexec_b64 s[4:5], s[40:41]
	s_cbranch_execz .LBB0_107
; %bb.106:
	v_mov_b32_e32 v0, 0
	v_mov_b32_e32 v87, 2
	global_store_dwordx2 v0, v[105:106], s[44:45]
	global_store_dwordx2 v0, v[105:106], s[46:47]
	s_waitcnt vmcnt(0)
	buffer_wbinvl1_vol
	global_atomic_swap v0, v87, s[52:53]
.LBB0_107:
	s_or_b64 exec, exec, s[4:5]
	v_mov_b32_e32 v148, v30
	v_mov_b32_e32 v144, v32
	;; [unrolled: 1-line block ×60, first 2 shown]
.LBB0_108:
	s_add_u32 s4, s48, -1
	s_addc_u32 s5, s49, -1
	s_and_saveexec_b64 s[6:7], s[0:1]
	s_cbranch_execz .LBB0_113
; %bb.109:
	v_cmp_ne_u64_e32 vcc, v[149:150], v[147:148]
	s_and_saveexec_b64 s[0:1], vcc
	s_cbranch_execz .LBB0_111
; %bb.110:
	v_lshlrev_b64 v[0:1], 2, v[149:150]
	v_mov_b32_e32 v2, s43
	v_add_co_u32_e32 v0, vcc, s42, v0
	v_addc_co_u32_e32 v1, vcc, v2, v1, vcc
	global_store_dword v[0:1], v57, off
.LBB0_111:
	s_or_b64 exec, exec, s[0:1]
	v_cmp_eq_u64_e32 vcc, s[4:5], v[57:58]
	s_and_b64 exec, exec, vcc
	s_cbranch_execz .LBB0_113
; %bb.112:
	v_mov_b32_e32 v0, 0
	global_store_dwordx2 v0, v[147:148], s[54:55]
.LBB0_113:
	s_or_b64 exec, exec, s[6:7]
	s_and_saveexec_b64 s[0:1], s[2:3]
	s_cbranch_execz .LBB0_118
; %bb.114:
	v_cmp_ne_u64_e32 vcc, v[145:146], v[143:144]
	s_and_saveexec_b64 s[2:3], vcc
	s_cbranch_execz .LBB0_116
; %bb.115:
	v_lshlrev_b64 v[0:1], 2, v[145:146]
	v_mov_b32_e32 v2, s43
	v_add_co_u32_e32 v0, vcc, s42, v0
	v_addc_co_u32_e32 v1, vcc, v2, v1, vcc
	global_store_dword v[0:1], v59, off
.LBB0_116:
	s_or_b64 exec, exec, s[2:3]
	v_cmp_eq_u64_e32 vcc, s[4:5], v[59:60]
	s_and_b64 exec, exec, vcc
	s_cbranch_execz .LBB0_118
; %bb.117:
	v_mov_b32_e32 v0, 0
	global_store_dwordx2 v0, v[143:144], s[54:55]
.LBB0_118:
	s_or_b64 exec, exec, s[0:1]
	;; [unrolled: 22-line block ×14, first 2 shown]
	s_and_saveexec_b64 s[0:1], s[28:29]
	s_cbranch_execz .LBB0_183
; %bb.179:
	v_cmp_ne_u64_e32 vcc, v[89:90], v[87:88]
	s_and_saveexec_b64 s[0:1], vcc
	s_cbranch_execz .LBB0_181
; %bb.180:
	v_lshlrev_b64 v[0:1], 2, v[89:90]
	v_mov_b32_e32 v2, s43
	v_add_co_u32_e32 v0, vcc, s42, v0
	v_addc_co_u32_e32 v1, vcc, v2, v1, vcc
	global_store_dword v[0:1], v85, off
.LBB0_181:
	s_or_b64 exec, exec, s[0:1]
	v_cmp_eq_u64_e32 vcc, s[4:5], v[85:86]
	s_and_b64 exec, exec, vcc
	s_cbranch_execz .LBB0_183
; %bb.182:
	v_mov_b32_e32 v0, 0
	global_store_dwordx2 v0, v[87:88], s[54:55]
.LBB0_183:
	s_endpgm
	.section	.rodata,"a",@progbits
	.p2align	6, 0x0
	.amdhsa_kernel _ZN8rajaperf5basic16indexlist_customILm256ELm15EEEvPdPiPlS4_PjS4_l
		.amdhsa_group_segment_fixed_size 30720
		.amdhsa_private_segment_fixed_size 0
		.amdhsa_kernarg_size 312
		.amdhsa_user_sgpr_count 6
		.amdhsa_user_sgpr_private_segment_buffer 1
		.amdhsa_user_sgpr_dispatch_ptr 0
		.amdhsa_user_sgpr_queue_ptr 0
		.amdhsa_user_sgpr_kernarg_segment_ptr 1
		.amdhsa_user_sgpr_dispatch_id 0
		.amdhsa_user_sgpr_flat_scratch_init 0
		.amdhsa_user_sgpr_private_segment_size 0
		.amdhsa_uses_dynamic_stack 0
		.amdhsa_system_sgpr_private_segment_wavefront_offset 0
		.amdhsa_system_sgpr_workgroup_id_x 1
		.amdhsa_system_sgpr_workgroup_id_y 0
		.amdhsa_system_sgpr_workgroup_id_z 0
		.amdhsa_system_sgpr_workgroup_info 0
		.amdhsa_system_vgpr_workitem_id 0
		.amdhsa_next_free_vgpr 151
		.amdhsa_next_free_sgpr 98
		.amdhsa_reserve_vcc 1
		.amdhsa_reserve_flat_scratch 0
		.amdhsa_float_round_mode_32 0
		.amdhsa_float_round_mode_16_64 0
		.amdhsa_float_denorm_mode_32 3
		.amdhsa_float_denorm_mode_16_64 3
		.amdhsa_dx10_clamp 1
		.amdhsa_ieee_mode 1
		.amdhsa_fp16_overflow 0
		.amdhsa_exception_fp_ieee_invalid_op 0
		.amdhsa_exception_fp_denorm_src 0
		.amdhsa_exception_fp_ieee_div_zero 0
		.amdhsa_exception_fp_ieee_overflow 0
		.amdhsa_exception_fp_ieee_underflow 0
		.amdhsa_exception_fp_ieee_inexact 0
		.amdhsa_exception_int_div_zero 0
	.end_amdhsa_kernel
	.section	.text._ZN8rajaperf5basic16indexlist_customILm256ELm15EEEvPdPiPlS4_PjS4_l,"axG",@progbits,_ZN8rajaperf5basic16indexlist_customILm256ELm15EEEvPdPiPlS4_PjS4_l,comdat
.Lfunc_end0:
	.size	_ZN8rajaperf5basic16indexlist_customILm256ELm15EEEvPdPiPlS4_PjS4_l, .Lfunc_end0-_ZN8rajaperf5basic16indexlist_customILm256ELm15EEEvPdPiPlS4_PjS4_l
                                        ; -- End function
	.set _ZN8rajaperf5basic16indexlist_customILm256ELm15EEEvPdPiPlS4_PjS4_l.num_vgpr, 151
	.set _ZN8rajaperf5basic16indexlist_customILm256ELm15EEEvPdPiPlS4_PjS4_l.num_agpr, 0
	.set _ZN8rajaperf5basic16indexlist_customILm256ELm15EEEvPdPiPlS4_PjS4_l.numbered_sgpr, 60
	.set _ZN8rajaperf5basic16indexlist_customILm256ELm15EEEvPdPiPlS4_PjS4_l.num_named_barrier, 0
	.set _ZN8rajaperf5basic16indexlist_customILm256ELm15EEEvPdPiPlS4_PjS4_l.private_seg_size, 0
	.set _ZN8rajaperf5basic16indexlist_customILm256ELm15EEEvPdPiPlS4_PjS4_l.uses_vcc, 1
	.set _ZN8rajaperf5basic16indexlist_customILm256ELm15EEEvPdPiPlS4_PjS4_l.uses_flat_scratch, 0
	.set _ZN8rajaperf5basic16indexlist_customILm256ELm15EEEvPdPiPlS4_PjS4_l.has_dyn_sized_stack, 0
	.set _ZN8rajaperf5basic16indexlist_customILm256ELm15EEEvPdPiPlS4_PjS4_l.has_recursion, 0
	.set _ZN8rajaperf5basic16indexlist_customILm256ELm15EEEvPdPiPlS4_PjS4_l.has_indirect_call, 0
	.section	.AMDGPU.csdata,"",@progbits
; Kernel info:
; codeLenInByte = 5624
; TotalNumSgprs: 64
; NumVgprs: 151
; ScratchSize: 0
; MemoryBound: 0
; FloatMode: 240
; IeeeMode: 1
; LDSByteSize: 30720 bytes/workgroup (compile time only)
; SGPRBlocks: 12
; VGPRBlocks: 37
; NumSGPRsForWavesPerEU: 102
; NumVGPRsForWavesPerEU: 151
; Occupancy: 1
; WaveLimiterHint : 0
; COMPUTE_PGM_RSRC2:SCRATCH_EN: 0
; COMPUTE_PGM_RSRC2:USER_SGPR: 6
; COMPUTE_PGM_RSRC2:TRAP_HANDLER: 0
; COMPUTE_PGM_RSRC2:TGID_X_EN: 1
; COMPUTE_PGM_RSRC2:TGID_Y_EN: 0
; COMPUTE_PGM_RSRC2:TGID_Z_EN: 0
; COMPUTE_PGM_RSRC2:TIDIG_COMP_CNT: 0
	.section	.AMDGPU.gpr_maximums,"",@progbits
	.set amdgpu.max_num_vgpr, 0
	.set amdgpu.max_num_agpr, 0
	.set amdgpu.max_num_sgpr, 0
	.section	.AMDGPU.csdata,"",@progbits
	.type	__hip_cuid_f72d72ab2d71e008,@object ; @__hip_cuid_f72d72ab2d71e008
	.section	.bss,"aw",@nobits
	.globl	__hip_cuid_f72d72ab2d71e008
__hip_cuid_f72d72ab2d71e008:
	.byte	0                               ; 0x0
	.size	__hip_cuid_f72d72ab2d71e008, 1

	.ident	"AMD clang version 22.0.0git (https://github.com/RadeonOpenCompute/llvm-project roc-7.2.4 26084 f58b06dce1f9c15707c5f808fd002e18c2accf7e)"
	.section	".note.GNU-stack","",@progbits
	.addrsig
	.addrsig_sym __hip_cuid_f72d72ab2d71e008
	.amdgpu_metadata
---
amdhsa.kernels:
  - .args:
      - .address_space:  global
        .offset:         0
        .size:           8
        .value_kind:     global_buffer
      - .address_space:  global
        .offset:         8
        .size:           8
        .value_kind:     global_buffer
      - .address_space:  global
        .offset:         16
        .size:           8
        .value_kind:     global_buffer
      - .address_space:  global
        .offset:         24
        .size:           8
        .value_kind:     global_buffer
      - .address_space:  global
        .offset:         32
        .size:           8
        .value_kind:     global_buffer
      - .address_space:  global
        .offset:         40
        .size:           8
        .value_kind:     global_buffer
      - .offset:         48
        .size:           8
        .value_kind:     by_value
      - .offset:         56
        .size:           4
        .value_kind:     hidden_block_count_x
      - .offset:         60
        .size:           4
        .value_kind:     hidden_block_count_y
      - .offset:         64
        .size:           4
        .value_kind:     hidden_block_count_z
      - .offset:         68
        .size:           2
        .value_kind:     hidden_group_size_x
      - .offset:         70
        .size:           2
        .value_kind:     hidden_group_size_y
      - .offset:         72
        .size:           2
        .value_kind:     hidden_group_size_z
      - .offset:         74
        .size:           2
        .value_kind:     hidden_remainder_x
      - .offset:         76
        .size:           2
        .value_kind:     hidden_remainder_y
      - .offset:         78
        .size:           2
        .value_kind:     hidden_remainder_z
      - .offset:         96
        .size:           8
        .value_kind:     hidden_global_offset_x
      - .offset:         104
        .size:           8
        .value_kind:     hidden_global_offset_y
      - .offset:         112
        .size:           8
        .value_kind:     hidden_global_offset_z
      - .offset:         120
        .size:           2
        .value_kind:     hidden_grid_dims
    .group_segment_fixed_size: 30720
    .kernarg_segment_align: 8
    .kernarg_segment_size: 312
    .language:       OpenCL C
    .language_version:
      - 2
      - 0
    .max_flat_workgroup_size: 256
    .name:           _ZN8rajaperf5basic16indexlist_customILm256ELm15EEEvPdPiPlS4_PjS4_l
    .private_segment_fixed_size: 0
    .sgpr_count:     64
    .sgpr_spill_count: 0
    .symbol:         _ZN8rajaperf5basic16indexlist_customILm256ELm15EEEvPdPiPlS4_PjS4_l.kd
    .uniform_work_group_size: 1
    .uses_dynamic_stack: false
    .vgpr_count:     151
    .vgpr_spill_count: 0
    .wavefront_size: 64
amdhsa.target:   amdgcn-amd-amdhsa--gfx906
amdhsa.version:
  - 1
  - 2
...

	.end_amdgpu_metadata
